;; amdgpu-corpus repo=zjin-lcf/HeCBench kind=compiled arch=gfx906 opt=O3
	.amdgcn_target "amdgcn-amd-amdhsa--gfx906"
	.amdhsa_code_object_version 6
	.text
	.protected	_Z7extractlPf           ; -- Begin function _Z7extractlPf
	.globl	_Z7extractlPf
	.p2align	8
	.type	_Z7extractlPf,@function
_Z7extractlPf:                          ; @_Z7extractlPf
; %bb.0:
	s_load_dwordx4 s[0:3], s[4:5], 0x0
	v_lshl_add_u32 v0, s6, 8, v0
	v_ashrrev_i32_e32 v1, 31, v0
	s_waitcnt lgkmcnt(0)
	v_cmp_gt_i64_e32 vcc, s[0:1], v[0:1]
	s_and_saveexec_b64 s[0:1], vcc
	s_cbranch_execz .LBB0_2
; %bb.1:
	v_lshlrev_b64 v[0:1], 2, v[0:1]
	v_mov_b32_e32 v2, s3
	v_add_co_u32_e32 v0, vcc, s2, v0
	v_addc_co_u32_e32 v1, vcc, v2, v1, vcc
	global_load_dword v2, v[0:1], off
	s_mov_b32 s2, 0x437f0000
	s_waitcnt vmcnt(0)
	v_div_scale_f32 v3, s[0:1], s2, s2, v2
	v_div_scale_f32 v4, vcc, v2, s2, v2
	s_mov_b32 s0, 0x3fb8aa3b
	s_mov_b32 s1, 0x42b17218
	v_rcp_f32_e32 v5, v3
	v_fma_f32 v6, -v3, v5, 1.0
	v_fmac_f32_e32 v5, v6, v5
	v_mul_f32_e32 v6, v4, v5
	v_fma_f32 v7, -v3, v6, v4
	v_fmac_f32_e32 v6, v7, v5
	v_fma_f32 v3, -v3, v6, v4
	v_div_fmas_f32 v3, v3, v5, v6
	v_div_fixup_f32 v2, v3, s2, v2
	v_mul_f32_e32 v3, 0x3fb8aa3b, v2
	v_fma_f32 v4, v2, s0, -v3
	v_rndne_f32_e32 v5, v3
	v_fmac_f32_e32 v4, 0x32a5705f, v2
	v_sub_f32_e32 v3, v3, v5
	v_add_f32_e32 v3, v3, v4
	v_cvt_i32_f32_e32 v5, v5
	v_exp_f32_e32 v3, v3
	s_mov_b32 s0, 0xc2ce8ed0
	v_cmp_ngt_f32_e32 vcc, s0, v2
	v_mov_b32_e32 v4, 0x7f800000
	v_ldexp_f32 v3, v3, v5
	v_cndmask_b32_e32 v3, 0, v3, vcc
	v_cmp_nlt_f32_e32 vcc, s1, v2
	v_cndmask_b32_e32 v2, v4, v3, vcc
	global_store_dword v[0:1], v2, off
.LBB0_2:
	s_endpgm
	.section	.rodata,"a",@progbits
	.p2align	6, 0x0
	.amdhsa_kernel _Z7extractlPf
		.amdhsa_group_segment_fixed_size 0
		.amdhsa_private_segment_fixed_size 0
		.amdhsa_kernarg_size 16
		.amdhsa_user_sgpr_count 6
		.amdhsa_user_sgpr_private_segment_buffer 1
		.amdhsa_user_sgpr_dispatch_ptr 0
		.amdhsa_user_sgpr_queue_ptr 0
		.amdhsa_user_sgpr_kernarg_segment_ptr 1
		.amdhsa_user_sgpr_dispatch_id 0
		.amdhsa_user_sgpr_flat_scratch_init 0
		.amdhsa_user_sgpr_private_segment_size 0
		.amdhsa_uses_dynamic_stack 0
		.amdhsa_system_sgpr_private_segment_wavefront_offset 0
		.amdhsa_system_sgpr_workgroup_id_x 1
		.amdhsa_system_sgpr_workgroup_id_y 0
		.amdhsa_system_sgpr_workgroup_id_z 0
		.amdhsa_system_sgpr_workgroup_info 0
		.amdhsa_system_vgpr_workitem_id 0
		.amdhsa_next_free_vgpr 8
		.amdhsa_next_free_sgpr 7
		.amdhsa_reserve_vcc 1
		.amdhsa_reserve_flat_scratch 0
		.amdhsa_float_round_mode_32 0
		.amdhsa_float_round_mode_16_64 0
		.amdhsa_float_denorm_mode_32 3
		.amdhsa_float_denorm_mode_16_64 3
		.amdhsa_dx10_clamp 1
		.amdhsa_ieee_mode 1
		.amdhsa_fp16_overflow 0
		.amdhsa_exception_fp_ieee_invalid_op 0
		.amdhsa_exception_fp_denorm_src 0
		.amdhsa_exception_fp_ieee_div_zero 0
		.amdhsa_exception_fp_ieee_overflow 0
		.amdhsa_exception_fp_ieee_underflow 0
		.amdhsa_exception_fp_ieee_inexact 0
		.amdhsa_exception_int_div_zero 0
	.end_amdhsa_kernel
	.text
.Lfunc_end0:
	.size	_Z7extractlPf, .Lfunc_end0-_Z7extractlPf
                                        ; -- End function
	.set _Z7extractlPf.num_vgpr, 8
	.set _Z7extractlPf.num_agpr, 0
	.set _Z7extractlPf.numbered_sgpr, 7
	.set _Z7extractlPf.num_named_barrier, 0
	.set _Z7extractlPf.private_seg_size, 0
	.set _Z7extractlPf.uses_vcc, 1
	.set _Z7extractlPf.uses_flat_scratch, 0
	.set _Z7extractlPf.has_dyn_sized_stack, 0
	.set _Z7extractlPf.has_recursion, 0
	.set _Z7extractlPf.has_indirect_call, 0
	.section	.AMDGPU.csdata,"",@progbits
; Kernel info:
; codeLenInByte = 260
; TotalNumSgprs: 11
; NumVgprs: 8
; ScratchSize: 0
; MemoryBound: 0
; FloatMode: 240
; IeeeMode: 1
; LDSByteSize: 0 bytes/workgroup (compile time only)
; SGPRBlocks: 1
; VGPRBlocks: 1
; NumSGPRsForWavesPerEU: 11
; NumVGPRsForWavesPerEU: 8
; Occupancy: 10
; WaveLimiterHint : 0
; COMPUTE_PGM_RSRC2:SCRATCH_EN: 0
; COMPUTE_PGM_RSRC2:USER_SGPR: 6
; COMPUTE_PGM_RSRC2:TRAP_HANDLER: 0
; COMPUTE_PGM_RSRC2:TGID_X_EN: 1
; COMPUTE_PGM_RSRC2:TGID_Y_EN: 0
; COMPUTE_PGM_RSRC2:TGID_Z_EN: 0
; COMPUTE_PGM_RSRC2:TIDIG_COMP_CNT: 0
	.text
	.protected	_Z7preparelPKfPfS1_     ; -- Begin function _Z7preparelPKfPfS1_
	.globl	_Z7preparelPKfPfS1_
	.p2align	8
	.type	_Z7preparelPKfPfS1_,@function
_Z7preparelPKfPfS1_:                    ; @_Z7preparelPKfPfS1_
; %bb.0:
	s_load_dwordx8 s[8:15], s[4:5], 0x0
	v_lshl_add_u32 v0, s6, 8, v0
	v_ashrrev_i32_e32 v1, 31, v0
	s_waitcnt lgkmcnt(0)
	v_cmp_gt_i64_e32 vcc, s[8:9], v[0:1]
	s_and_saveexec_b64 s[0:1], vcc
	s_cbranch_execz .LBB1_2
; %bb.1:
	v_lshlrev_b64 v[0:1], 2, v[0:1]
	v_mov_b32_e32 v3, s11
	v_add_co_u32_e32 v2, vcc, s10, v0
	v_addc_co_u32_e32 v3, vcc, v3, v1, vcc
	global_load_dword v4, v[2:3], off
	v_mov_b32_e32 v3, s13
	v_add_co_u32_e32 v2, vcc, s12, v0
	v_addc_co_u32_e32 v3, vcc, v3, v1, vcc
	v_mov_b32_e32 v5, s15
	v_add_co_u32_e32 v0, vcc, s14, v0
	v_addc_co_u32_e32 v1, vcc, v5, v1, vcc
	s_waitcnt vmcnt(0)
	global_store_dword v[2:3], v4, off
	v_mul_f32_e32 v2, v4, v4
	global_store_dword v[0:1], v2, off
.LBB1_2:
	s_endpgm
	.section	.rodata,"a",@progbits
	.p2align	6, 0x0
	.amdhsa_kernel _Z7preparelPKfPfS1_
		.amdhsa_group_segment_fixed_size 0
		.amdhsa_private_segment_fixed_size 0
		.amdhsa_kernarg_size 32
		.amdhsa_user_sgpr_count 6
		.amdhsa_user_sgpr_private_segment_buffer 1
		.amdhsa_user_sgpr_dispatch_ptr 0
		.amdhsa_user_sgpr_queue_ptr 0
		.amdhsa_user_sgpr_kernarg_segment_ptr 1
		.amdhsa_user_sgpr_dispatch_id 0
		.amdhsa_user_sgpr_flat_scratch_init 0
		.amdhsa_user_sgpr_private_segment_size 0
		.amdhsa_uses_dynamic_stack 0
		.amdhsa_system_sgpr_private_segment_wavefront_offset 0
		.amdhsa_system_sgpr_workgroup_id_x 1
		.amdhsa_system_sgpr_workgroup_id_y 0
		.amdhsa_system_sgpr_workgroup_id_z 0
		.amdhsa_system_sgpr_workgroup_info 0
		.amdhsa_system_vgpr_workitem_id 0
		.amdhsa_next_free_vgpr 6
		.amdhsa_next_free_sgpr 16
		.amdhsa_reserve_vcc 1
		.amdhsa_reserve_flat_scratch 0
		.amdhsa_float_round_mode_32 0
		.amdhsa_float_round_mode_16_64 0
		.amdhsa_float_denorm_mode_32 3
		.amdhsa_float_denorm_mode_16_64 3
		.amdhsa_dx10_clamp 1
		.amdhsa_ieee_mode 1
		.amdhsa_fp16_overflow 0
		.amdhsa_exception_fp_ieee_invalid_op 0
		.amdhsa_exception_fp_denorm_src 0
		.amdhsa_exception_fp_ieee_div_zero 0
		.amdhsa_exception_fp_ieee_overflow 0
		.amdhsa_exception_fp_ieee_underflow 0
		.amdhsa_exception_fp_ieee_inexact 0
		.amdhsa_exception_int_div_zero 0
	.end_amdhsa_kernel
	.text
.Lfunc_end1:
	.size	_Z7preparelPKfPfS1_, .Lfunc_end1-_Z7preparelPKfPfS1_
                                        ; -- End function
	.set _Z7preparelPKfPfS1_.num_vgpr, 6
	.set _Z7preparelPKfPfS1_.num_agpr, 0
	.set _Z7preparelPKfPfS1_.numbered_sgpr, 16
	.set _Z7preparelPKfPfS1_.num_named_barrier, 0
	.set _Z7preparelPKfPfS1_.private_seg_size, 0
	.set _Z7preparelPKfPfS1_.uses_vcc, 1
	.set _Z7preparelPKfPfS1_.uses_flat_scratch, 0
	.set _Z7preparelPKfPfS1_.has_dyn_sized_stack, 0
	.set _Z7preparelPKfPfS1_.has_recursion, 0
	.set _Z7preparelPKfPfS1_.has_indirect_call, 0
	.section	.AMDGPU.csdata,"",@progbits
; Kernel info:
; codeLenInByte = 116
; TotalNumSgprs: 20
; NumVgprs: 6
; ScratchSize: 0
; MemoryBound: 0
; FloatMode: 240
; IeeeMode: 1
; LDSByteSize: 0 bytes/workgroup (compile time only)
; SGPRBlocks: 2
; VGPRBlocks: 1
; NumSGPRsForWavesPerEU: 20
; NumVGPRsForWavesPerEU: 6
; Occupancy: 10
; WaveLimiterHint : 0
; COMPUTE_PGM_RSRC2:SCRATCH_EN: 0
; COMPUTE_PGM_RSRC2:USER_SGPR: 6
; COMPUTE_PGM_RSRC2:TRAP_HANDLER: 0
; COMPUTE_PGM_RSRC2:TGID_X_EN: 1
; COMPUTE_PGM_RSRC2:TGID_Y_EN: 0
; COMPUTE_PGM_RSRC2:TGID_Z_EN: 0
; COMPUTE_PGM_RSRC2:TIDIG_COMP_CNT: 0
	.text
	.protected	_Z6reduceliiPfS_        ; -- Begin function _Z6reduceliiPfS_
	.globl	_Z6reduceliiPfS_
	.p2align	8
	.type	_Z6reduceliiPfS_,@function
_Z6reduceliiPfS_:                       ; @_Z6reduceliiPfS_
; %bb.0:
	s_load_dwordx2 s[2:3], s[4:5], 0x8
	s_load_dwordx4 s[8:11], s[4:5], 0x10
	s_load_dword s12, s[4:5], 0x20
	s_lshl_b32 s7, s6, 8
	v_add_u32_e32 v1, s7, v0
	s_waitcnt lgkmcnt(0)
	v_cmp_gt_i32_e32 vcc, s2, v1
	v_lshlrev_b32_e32 v3, 2, v0
	s_and_saveexec_b64 s[0:1], vcc
	s_cbranch_execz .LBB2_2
; %bb.1:
	v_mul_lo_u32 v1, s3, v1
	v_mov_b32_e32 v5, s9
	v_ashrrev_i32_e32 v2, 31, v1
	v_lshlrev_b64 v[1:2], 2, v[1:2]
	v_add_co_u32_e32 v4, vcc, s8, v1
	v_addc_co_u32_e32 v5, vcc, v5, v2, vcc
	global_load_dword v4, v[4:5], off
	v_mov_b32_e32 v5, s11
	v_add_co_u32_e32 v1, vcc, s10, v1
	v_addc_co_u32_e32 v2, vcc, v5, v2, vcc
	global_load_dword v1, v[1:2], off
	s_waitcnt vmcnt(0)
	ds_write2st64_b32 v3, v4, v1 offset1:4
.LBB2_2:
	s_or_b64 exec, exec, s[0:1]
	s_lshl_b32 s16, s12, 8
	s_cmp_lg_u32 s2, s16
	s_waitcnt lgkmcnt(0)
	s_barrier
	s_cbranch_scc0 .LBB2_23
; %bb.3:
	s_add_i32 s12, s12, -1
	s_cmp_lg_u32 s6, s12
	s_cbranch_scc0 .LBB2_24
; %bb.4:
	v_and_b32_e32 v2, 1, v0
	v_add_u32_e32 v1, 0x400, v3
	v_cmp_eq_u32_e32 vcc, 1, v2
	s_and_saveexec_b64 s[0:1], vcc
	s_cbranch_execz .LBB2_6
; %bb.5:
	v_add_u32_e32 v2, -4, v3
	ds_read2_b32 v[4:5], v2 offset1:1
	v_mov_b32_e32 v2, 0x3fc
	v_lshl_add_u32 v2, v0, 2, v2
	ds_read2_b32 v[6:7], v2 offset1:1
	s_waitcnt lgkmcnt(1)
	v_add_f32_e32 v2, v5, v4
	ds_write_b32 v3, v2
	s_waitcnt lgkmcnt(1)
	v_add_f32_e32 v2, v7, v6
	ds_write_b32 v1, v2
.LBB2_6:
	s_or_b64 exec, exec, s[0:1]
	v_add_u32_e32 v2, 1, v0
	v_and_b32_e32 v4, 3, v2
	v_cmp_eq_u32_e32 vcc, 0, v4
	s_waitcnt lgkmcnt(0)
	s_barrier
	s_and_saveexec_b64 s[0:1], vcc
	s_cbranch_execz .LBB2_8
; %bb.7:
	v_add_u32_e32 v4, -8, v3
	ds_read_b32 v5, v3
	ds_read_b32 v6, v3 offset:1016
	ds_read_b32 v4, v4
	ds_read_b32 v7, v1
	s_waitcnt lgkmcnt(1)
	v_add_f32_e32 v4, v5, v4
	s_waitcnt lgkmcnt(0)
	v_add_f32_e32 v5, v7, v6
	ds_write_b32 v3, v4
	ds_write_b32 v1, v5
.LBB2_8:
	s_or_b64 exec, exec, s[0:1]
	v_and_b32_e32 v4, 7, v2
	v_cmp_eq_u32_e32 vcc, 0, v4
	s_waitcnt lgkmcnt(0)
	s_barrier
	s_and_saveexec_b64 s[0:1], vcc
	s_cbranch_execz .LBB2_10
; %bb.9:
	v_add_u32_e32 v4, -16, v3
	ds_read_b32 v5, v3
	ds_read_b32 v6, v3 offset:1008
	ds_read_b32 v4, v4
	ds_read_b32 v7, v1
	s_waitcnt lgkmcnt(1)
	v_add_f32_e32 v4, v5, v4
	s_waitcnt lgkmcnt(0)
	v_add_f32_e32 v5, v7, v6
	ds_write_b32 v3, v4
	ds_write_b32 v1, v5
.LBB2_10:
	s_or_b64 exec, exec, s[0:1]
	v_and_b32_e32 v4, 15, v2
	v_cmp_eq_u32_e32 vcc, 0, v4
	s_waitcnt lgkmcnt(0)
	s_barrier
	s_and_saveexec_b64 s[0:1], vcc
	s_cbranch_execz .LBB2_12
; %bb.11:
	v_subrev_u32_e32 v4, 32, v3
	ds_read_b32 v5, v3
	ds_read_b32 v6, v3 offset:992
	ds_read_b32 v4, v4
	ds_read_b32 v7, v1
	s_waitcnt lgkmcnt(1)
	v_add_f32_e32 v4, v5, v4
	s_waitcnt lgkmcnt(0)
	v_add_f32_e32 v5, v7, v6
	ds_write_b32 v3, v4
	ds_write_b32 v1, v5
.LBB2_12:
	s_or_b64 exec, exec, s[0:1]
	v_and_b32_e32 v4, 31, v2
	v_cmp_eq_u32_e32 vcc, 0, v4
	s_waitcnt lgkmcnt(0)
	s_barrier
	s_and_saveexec_b64 s[0:1], vcc
	s_cbranch_execz .LBB2_14
; %bb.13:
	v_subrev_u32_e32 v4, 64, v3
	ds_read_b32 v5, v3
	ds_read_b32 v6, v3 offset:960
	ds_read_b32 v4, v4
	ds_read_b32 v7, v1
	s_waitcnt lgkmcnt(1)
	v_add_f32_e32 v4, v5, v4
	s_waitcnt lgkmcnt(0)
	v_add_f32_e32 v5, v7, v6
	ds_write_b32 v3, v4
	ds_write_b32 v1, v5
.LBB2_14:
	s_or_b64 exec, exec, s[0:1]
	v_and_b32_e32 v4, 63, v2
	v_cmp_eq_u32_e32 vcc, 0, v4
	s_waitcnt lgkmcnt(0)
	s_barrier
	s_and_saveexec_b64 s[0:1], vcc
	s_cbranch_execz .LBB2_16
; %bb.15:
	v_add_u32_e32 v4, 0xffffff80, v3
	ds_read_b32 v5, v3
	ds_read_b32 v6, v3 offset:896
	ds_read_b32 v4, v4
	ds_read_b32 v7, v1
	s_waitcnt lgkmcnt(1)
	v_add_f32_e32 v4, v5, v4
	s_waitcnt lgkmcnt(0)
	v_add_f32_e32 v5, v7, v6
	ds_write_b32 v3, v4
	ds_write_b32 v1, v5
.LBB2_16:
	s_or_b64 exec, exec, s[0:1]
	v_and_b32_e32 v4, 0x7f, v2
	v_cmp_eq_u32_e32 vcc, 0, v4
	s_waitcnt lgkmcnt(0)
	s_barrier
	s_and_saveexec_b64 s[0:1], vcc
	s_cbranch_execz .LBB2_18
; %bb.17:
	v_add_u32_e32 v4, 0xffffff00, v3
	ds_read_b32 v5, v3
	ds_read_b32 v6, v3 offset:768
	ds_read_b32 v4, v4
	ds_read_b32 v7, v1
	s_waitcnt lgkmcnt(1)
	v_add_f32_e32 v4, v5, v4
	s_waitcnt lgkmcnt(0)
	v_add_f32_e32 v5, v7, v6
	ds_write_b32 v3, v4
	ds_write_b32 v1, v5
.LBB2_18:
	s_or_b64 exec, exec, s[0:1]
	v_mov_b32_e32 v4, 0
	s_movk_i32 s4, 0xff
	v_cmp_eq_u32_sdwa s[12:13], v2, v4 src0_sel:BYTE_0 src1_sel:DWORD
	s_waitcnt lgkmcnt(0)
	s_barrier
	s_and_saveexec_b64 s[0:1], s[12:13]
	s_cbranch_execz .LBB2_20
; %bb.19:
	v_add_u32_e32 v2, 0xfffffe00, v3
	ds_read_b32 v4, v3
	ds_read_b32 v5, v3 offset:512
	ds_read_b32 v2, v2
	ds_read_b32 v6, v1
	s_waitcnt lgkmcnt(1)
	v_add_f32_e32 v2, v4, v2
	s_waitcnt lgkmcnt(0)
	v_add_f32_e32 v4, v6, v5
	ds_write_b32 v3, v2
	ds_write_b32 v1, v4
.LBB2_20:
	s_or_b64 exec, exec, s[0:1]
	v_cmp_eq_u32_e32 vcc, s4, v0
	s_mov_b64 s[12:13], 0
	s_mov_b64 s[4:5], 0
	s_waitcnt lgkmcnt(0)
	s_barrier
                                        ; implicit-def: $vgpr2
                                        ; implicit-def: $sgpr0_sgpr1
	s_and_saveexec_b64 s[14:15], vcc
	s_xor_b64 s[14:15], exec, s[14:15]
	s_cbranch_execz .LBB2_22
; %bb.21:
	s_movk_i32 s0, 0xfc
	v_add_u32_e64 v1, s0, 0
	s_mul_i32 s0, s3, s6
	ds_read2st64_b32 v[1:2], v1 offset0:3 offset1:7
	s_lshl_b32 s0, s0, 8
	s_ashr_i32 s1, s0, 31
	s_lshl_b64 s[18:19], s[0:1], 2
	s_add_u32 s18, s8, s18
	s_mov_b64 s[4:5], exec
	v_mov_b32_e32 v4, 0
	s_addc_u32 s19, s9, s19
	s_waitcnt lgkmcnt(0)
	global_store_dword v4, v1, s[18:19]
.LBB2_22:
	s_or_b64 exec, exec, s[14:15]
	s_and_b64 vcc, exec, s[12:13]
	s_cbranch_vccnz .LBB2_25
	s_branch .LBB2_39
.LBB2_23:
	s_mov_b64 s[4:5], 0
                                        ; implicit-def: $vgpr2
                                        ; implicit-def: $sgpr0_sgpr1
	s_cbranch_execnz .LBB2_40
	s_branch .LBB2_59
.LBB2_24:
	s_mov_b64 s[4:5], 0
                                        ; implicit-def: $vgpr2
                                        ; implicit-def: $sgpr0_sgpr1
	s_cbranch_execz .LBB2_39
.LBB2_25:
	s_sub_i32 s0, s2, s16
	s_add_i32 s2, s0, 0x100
	s_cmp_lt_i32 s2, 2
	s_cselect_b32 s1, 0, 2
	s_cmp_lt_i32 s2, 4
	s_cselect_b32 s1, s1, 4
	;; [unrolled: 2-line block ×6, first 2 shown]
	s_cmpk_lt_i32 s2, 0x80
	s_cselect_b32 s1, s1, 0x80
	s_cmp_gt_u32 s0, 0x7ffffeff
	s_cselect_b32 s14, s1, 0x100
	s_cmp_lg_u32 s14, 0
	s_mov_b32 s12, 2
	s_cbranch_scc0 .LBB2_30
; %bb.26:
	v_add_u32_e32 v1, 1, v0
	v_cmp_gt_u32_e32 vcc, s14, v0
	v_add_u32_e32 v2, 0x400, v3
	s_branch .LBB2_28
.LBB2_27:                               ;   in Loop: Header=BB2_28 Depth=1
	s_or_b64 exec, exec, s[0:1]
	s_lshl_b32 s12, s12, 1
	s_cmp_le_u32 s12, s14
	s_waitcnt vmcnt(0) lgkmcnt(0)
	s_barrier
	s_cbranch_scc0 .LBB2_30
.LBB2_28:                               ; =>This Inner Loop Header: Depth=1
	s_add_i32 s0, s12, -1
	v_and_b32_e32 v4, s0, v1
	v_cmp_eq_u32_e64 s[0:1], 0, v4
	s_and_b64 s[16:17], s[0:1], vcc
	s_and_saveexec_b64 s[0:1], s[16:17]
	s_cbranch_execz .LBB2_27
; %bb.29:                               ;   in Loop: Header=BB2_28 Depth=1
	s_lshr_b32 s13, s12, 1
	v_subrev_u32_e32 v4, s13, v0
	v_lshlrev_b32_e32 v4, 2, v4
	ds_read2st64_b32 v[4:5], v4 offset1:4
	ds_read_b32 v6, v3
	ds_read_b32 v7, v2
	s_waitcnt lgkmcnt(1)
	v_add_f32_e32 v4, v6, v4
	s_waitcnt lgkmcnt(0)
	v_add_f32_e32 v5, v7, v5
	ds_write_b32 v3, v4
	ds_write_b32 v2, v5
	s_branch .LBB2_27
.LBB2_30:
	s_add_i32 s0, s14, -1
	v_cmp_eq_u32_e32 vcc, s0, v0
                                        ; implicit-def: $vgpr2
                                        ; implicit-def: $sgpr0_sgpr1
	s_and_saveexec_b64 s[12:13], vcc
	s_cbranch_execz .LBB2_38
; %bb.31:
	v_mov_b32_e32 v1, 0x400
	s_cmp_lt_i32 s14, s2
	v_lshl_add_u32 v4, v0, 2, v1
	s_cbranch_scc1 .LBB2_33
; %bb.32:
	ds_read_b32 v1, v3
	ds_read_b32 v2, v4
	s_cbranch_execz .LBB2_34
	s_branch .LBB2_37
.LBB2_33:
                                        ; implicit-def: $vgpr1
                                        ; implicit-def: $vgpr2
.LBB2_34:
	s_add_i32 s0, s14, s7
	s_ashr_i32 s1, s0, 31
	s_add_i32 s2, s2, s7
	s_waitcnt lgkmcnt(1)
	ds_read_b32 v1, v3
	s_waitcnt lgkmcnt(1)
	ds_read_b32 v2, v4
	s_lshl_b64 s[16:17], s[0:1], 2
	s_add_u32 s14, s8, s16
	s_addc_u32 s15, s9, s17
	s_add_u32 s16, s10, s16
	s_addc_u32 s17, s11, s17
	v_mov_b32_e32 v5, 0
.LBB2_35:                               ; =>This Inner Loop Header: Depth=1
	global_load_dword v6, v5, s[14:15]
	global_load_dword v7, v5, s[16:17]
	s_add_i32 s0, s0, 1
	s_add_u32 s14, s14, 4
	s_addc_u32 s15, s15, 0
	s_add_u32 s16, s16, 4
	s_addc_u32 s17, s17, 0
	s_cmp_lt_i32 s0, s2
	s_waitcnt vmcnt(1) lgkmcnt(1)
	v_add_f32_e32 v1, v1, v6
	s_waitcnt vmcnt(0) lgkmcnt(0)
	v_add_f32_e32 v2, v2, v7
	s_cbranch_scc1 .LBB2_35
; %bb.36:
	ds_write_b32 v3, v1
	ds_write_b32 v4, v2
.LBB2_37:
	s_mul_i32 s0, s3, s6
	s_lshl_b32 s0, s0, 8
	s_ashr_i32 s1, s0, 31
	s_lshl_b64 s[14:15], s[0:1], 2
	s_add_u32 s14, s8, s14
	s_addc_u32 s15, s9, s15
	v_mov_b32_e32 v4, 0
	s_or_b64 s[4:5], s[4:5], exec
	s_waitcnt lgkmcnt(1)
	global_store_dword v4, v1, s[14:15]
.LBB2_38:
	s_or_b64 exec, exec, s[12:13]
.LBB2_39:
	s_branch .LBB2_59
.LBB2_40:
	s_waitcnt lgkmcnt(0)
	v_and_b32_e32 v2, 1, v0
	v_add_u32_e32 v1, 0x400, v3
	v_cmp_eq_u32_e32 vcc, 1, v2
	s_and_saveexec_b64 s[0:1], vcc
	s_cbranch_execz .LBB2_42
; %bb.41:
	v_add_u32_e32 v2, -4, v3
	ds_read2_b32 v[4:5], v2 offset1:1
	v_mov_b32_e32 v2, 0x3fc
	v_lshl_add_u32 v2, v0, 2, v2
	ds_read2_b32 v[6:7], v2 offset1:1
	s_waitcnt lgkmcnt(1)
	v_add_f32_e32 v2, v5, v4
	ds_write_b32 v3, v2
	s_waitcnt lgkmcnt(1)
	v_add_f32_e32 v2, v7, v6
	ds_write_b32 v1, v2
.LBB2_42:
	s_or_b64 exec, exec, s[0:1]
	v_add_u32_e32 v2, 1, v0
	v_and_b32_e32 v4, 3, v2
	v_cmp_eq_u32_e32 vcc, 0, v4
	s_waitcnt vmcnt(0) lgkmcnt(0)
	s_barrier
	s_and_saveexec_b64 s[0:1], vcc
	s_cbranch_execz .LBB2_44
; %bb.43:
	v_add_u32_e32 v4, -8, v3
	ds_read_b32 v5, v3
	ds_read_b32 v6, v3 offset:1016
	ds_read_b32 v4, v4
	ds_read_b32 v7, v1
	s_waitcnt lgkmcnt(1)
	v_add_f32_e32 v4, v5, v4
	s_waitcnt lgkmcnt(0)
	v_add_f32_e32 v5, v7, v6
	ds_write_b32 v3, v4
	ds_write_b32 v1, v5
.LBB2_44:
	s_or_b64 exec, exec, s[0:1]
	v_and_b32_e32 v4, 7, v2
	v_cmp_eq_u32_e32 vcc, 0, v4
	s_waitcnt lgkmcnt(0)
	s_barrier
	s_and_saveexec_b64 s[0:1], vcc
	s_cbranch_execz .LBB2_46
; %bb.45:
	v_add_u32_e32 v4, -16, v3
	ds_read_b32 v5, v3
	ds_read_b32 v6, v3 offset:1008
	ds_read_b32 v4, v4
	ds_read_b32 v7, v1
	s_waitcnt lgkmcnt(1)
	v_add_f32_e32 v4, v5, v4
	s_waitcnt lgkmcnt(0)
	v_add_f32_e32 v5, v7, v6
	ds_write_b32 v3, v4
	ds_write_b32 v1, v5
.LBB2_46:
	s_or_b64 exec, exec, s[0:1]
	v_and_b32_e32 v4, 15, v2
	v_cmp_eq_u32_e32 vcc, 0, v4
	s_waitcnt lgkmcnt(0)
	s_barrier
	s_and_saveexec_b64 s[0:1], vcc
	s_cbranch_execz .LBB2_48
; %bb.47:
	v_subrev_u32_e32 v4, 32, v3
	ds_read_b32 v5, v3
	ds_read_b32 v6, v3 offset:992
	ds_read_b32 v4, v4
	ds_read_b32 v7, v1
	s_waitcnt lgkmcnt(1)
	v_add_f32_e32 v4, v5, v4
	s_waitcnt lgkmcnt(0)
	v_add_f32_e32 v5, v7, v6
	ds_write_b32 v3, v4
	ds_write_b32 v1, v5
.LBB2_48:
	s_or_b64 exec, exec, s[0:1]
	v_and_b32_e32 v4, 31, v2
	v_cmp_eq_u32_e32 vcc, 0, v4
	s_waitcnt lgkmcnt(0)
	s_barrier
	s_and_saveexec_b64 s[0:1], vcc
	s_cbranch_execz .LBB2_50
; %bb.49:
	v_subrev_u32_e32 v4, 64, v3
	ds_read_b32 v5, v3
	ds_read_b32 v6, v3 offset:960
	ds_read_b32 v4, v4
	ds_read_b32 v7, v1
	s_waitcnt lgkmcnt(1)
	v_add_f32_e32 v4, v5, v4
	s_waitcnt lgkmcnt(0)
	v_add_f32_e32 v5, v7, v6
	ds_write_b32 v3, v4
	ds_write_b32 v1, v5
.LBB2_50:
	s_or_b64 exec, exec, s[0:1]
	v_and_b32_e32 v4, 63, v2
	v_cmp_eq_u32_e32 vcc, 0, v4
	s_waitcnt lgkmcnt(0)
	s_barrier
	s_and_saveexec_b64 s[0:1], vcc
	s_cbranch_execz .LBB2_52
; %bb.51:
	v_add_u32_e32 v4, 0xffffff80, v3
	ds_read_b32 v5, v3
	ds_read_b32 v6, v3 offset:896
	ds_read_b32 v4, v4
	ds_read_b32 v7, v1
	s_waitcnt lgkmcnt(1)
	v_add_f32_e32 v4, v5, v4
	s_waitcnt lgkmcnt(0)
	v_add_f32_e32 v5, v7, v6
	ds_write_b32 v3, v4
	ds_write_b32 v1, v5
.LBB2_52:
	s_or_b64 exec, exec, s[0:1]
	v_and_b32_e32 v4, 0x7f, v2
	v_cmp_eq_u32_e32 vcc, 0, v4
	s_waitcnt lgkmcnt(0)
	s_barrier
	s_and_saveexec_b64 s[0:1], vcc
	s_cbranch_execz .LBB2_54
; %bb.53:
	v_add_u32_e32 v4, 0xffffff00, v3
	ds_read_b32 v5, v3
	ds_read_b32 v6, v3 offset:768
	ds_read_b32 v4, v4
	ds_read_b32 v7, v1
	s_waitcnt lgkmcnt(1)
	v_add_f32_e32 v4, v5, v4
	s_waitcnt lgkmcnt(0)
	v_add_f32_e32 v5, v7, v6
	ds_write_b32 v3, v4
	ds_write_b32 v1, v5
.LBB2_54:
	s_or_b64 exec, exec, s[0:1]
	v_mov_b32_e32 v4, 0
	s_movk_i32 s2, 0xff
	v_cmp_eq_u32_sdwa s[12:13], v2, v4 src0_sel:BYTE_0 src1_sel:DWORD
	s_waitcnt lgkmcnt(0)
	s_barrier
	s_and_saveexec_b64 s[0:1], s[12:13]
	s_cbranch_execz .LBB2_56
; %bb.55:
	v_add_u32_e32 v2, 0xfffffe00, v3
	ds_read_b32 v4, v3
	ds_read_b32 v5, v3 offset:512
	ds_read_b32 v2, v2
	ds_read_b32 v6, v1
	s_waitcnt lgkmcnt(1)
	v_add_f32_e32 v2, v4, v2
	s_waitcnt lgkmcnt(0)
	v_add_f32_e32 v4, v6, v5
	ds_write_b32 v3, v2
	ds_write_b32 v1, v4
.LBB2_56:
	s_or_b64 exec, exec, s[0:1]
	v_cmp_eq_u32_e32 vcc, s2, v0
	s_waitcnt lgkmcnt(0)
	s_barrier
                                        ; implicit-def: $vgpr2
                                        ; implicit-def: $sgpr0_sgpr1
	s_and_saveexec_b64 s[12:13], vcc
	s_cbranch_execz .LBB2_58
; %bb.57:
	s_movk_i32 s0, 0xfc
	v_add_u32_e64 v1, s0, 0
	s_mul_i32 s0, s3, s6
	ds_read2st64_b32 v[1:2], v1 offset0:3 offset1:7
	s_lshl_b32 s0, s0, 8
	s_ashr_i32 s1, s0, 31
	s_lshl_b64 s[2:3], s[0:1], 2
	s_add_u32 s2, s8, s2
	v_mov_b32_e32 v0, 0
	s_addc_u32 s3, s9, s3
	s_or_b64 s[4:5], s[4:5], exec
	s_waitcnt lgkmcnt(0)
	global_store_dword v0, v1, s[2:3]
.LBB2_58:
	s_or_b64 exec, exec, s[12:13]
.LBB2_59:
	s_and_saveexec_b64 s[2:3], s[4:5]
	s_cbranch_execnz .LBB2_61
; %bb.60:
	s_endpgm
.LBB2_61:
	s_lshl_b64 s[0:1], s[0:1], 2
	s_add_u32 s0, s10, s0
	s_addc_u32 s1, s11, s1
	v_mov_b32_e32 v0, 0
	s_waitcnt lgkmcnt(0)
	global_store_dword v0, v2, s[0:1]
	s_endpgm
	.section	.rodata,"a",@progbits
	.p2align	6, 0x0
	.amdhsa_kernel _Z6reduceliiPfS_
		.amdhsa_group_segment_fixed_size 2048
		.amdhsa_private_segment_fixed_size 0
		.amdhsa_kernarg_size 288
		.amdhsa_user_sgpr_count 6
		.amdhsa_user_sgpr_private_segment_buffer 1
		.amdhsa_user_sgpr_dispatch_ptr 0
		.amdhsa_user_sgpr_queue_ptr 0
		.amdhsa_user_sgpr_kernarg_segment_ptr 1
		.amdhsa_user_sgpr_dispatch_id 0
		.amdhsa_user_sgpr_flat_scratch_init 0
		.amdhsa_user_sgpr_private_segment_size 0
		.amdhsa_uses_dynamic_stack 0
		.amdhsa_system_sgpr_private_segment_wavefront_offset 0
		.amdhsa_system_sgpr_workgroup_id_x 1
		.amdhsa_system_sgpr_workgroup_id_y 0
		.amdhsa_system_sgpr_workgroup_id_z 0
		.amdhsa_system_sgpr_workgroup_info 0
		.amdhsa_system_vgpr_workitem_id 0
		.amdhsa_next_free_vgpr 29
		.amdhsa_next_free_sgpr 61
		.amdhsa_reserve_vcc 1
		.amdhsa_reserve_flat_scratch 0
		.amdhsa_float_round_mode_32 0
		.amdhsa_float_round_mode_16_64 0
		.amdhsa_float_denorm_mode_32 3
		.amdhsa_float_denorm_mode_16_64 3
		.amdhsa_dx10_clamp 1
		.amdhsa_ieee_mode 1
		.amdhsa_fp16_overflow 0
		.amdhsa_exception_fp_ieee_invalid_op 0
		.amdhsa_exception_fp_denorm_src 0
		.amdhsa_exception_fp_ieee_div_zero 0
		.amdhsa_exception_fp_ieee_overflow 0
		.amdhsa_exception_fp_ieee_underflow 0
		.amdhsa_exception_fp_ieee_inexact 0
		.amdhsa_exception_int_div_zero 0
	.end_amdhsa_kernel
	.text
.Lfunc_end2:
	.size	_Z6reduceliiPfS_, .Lfunc_end2-_Z6reduceliiPfS_
                                        ; -- End function
	.set _Z6reduceliiPfS_.num_vgpr, 8
	.set _Z6reduceliiPfS_.num_agpr, 0
	.set _Z6reduceliiPfS_.numbered_sgpr, 20
	.set _Z6reduceliiPfS_.num_named_barrier, 0
	.set _Z6reduceliiPfS_.private_seg_size, 0
	.set _Z6reduceliiPfS_.uses_vcc, 1
	.set _Z6reduceliiPfS_.uses_flat_scratch, 0
	.set _Z6reduceliiPfS_.has_dyn_sized_stack, 0
	.set _Z6reduceliiPfS_.has_recursion, 0
	.set _Z6reduceliiPfS_.has_indirect_call, 0
	.section	.AMDGPU.csdata,"",@progbits
; Kernel info:
; codeLenInByte = 2516
; TotalNumSgprs: 24
; NumVgprs: 8
; ScratchSize: 0
; MemoryBound: 0
; FloatMode: 240
; IeeeMode: 1
; LDSByteSize: 2048 bytes/workgroup (compile time only)
; SGPRBlocks: 8
; VGPRBlocks: 7
; NumSGPRsForWavesPerEU: 65
; NumVGPRsForWavesPerEU: 29
; Occupancy: 8
; WaveLimiterHint : 0
; COMPUTE_PGM_RSRC2:SCRATCH_EN: 0
; COMPUTE_PGM_RSRC2:USER_SGPR: 6
; COMPUTE_PGM_RSRC2:TRAP_HANDLER: 0
; COMPUTE_PGM_RSRC2:TGID_X_EN: 1
; COMPUTE_PGM_RSRC2:TGID_Y_EN: 0
; COMPUTE_PGM_RSRC2:TGID_Z_EN: 0
; COMPUTE_PGM_RSRC2:TIDIG_COMP_CNT: 0
	.text
	.protected	_Z4sradfiilPKiS0_S0_S0_PfS1_S1_S1_fS1_PKf ; -- Begin function _Z4sradfiilPKiS0_S0_S0_PfS1_S1_S1_fS1_PKf
	.globl	_Z4sradfiilPKiS0_S0_S0_PfS1_S1_S1_fS1_PKf
	.p2align	8
	.type	_Z4sradfiilPKiS0_S0_S0_PfS1_S1_S1_fS1_PKf,@function
_Z4sradfiilPKiS0_S0_S0_PfS1_S1_S1_fS1_PKf: ; @_Z4sradfiilPKiS0_S0_S0_PfS1_S1_S1_fS1_PKf
; %bb.0:
	s_load_dwordx16 s[8:23], s[4:5], 0x10
	v_lshl_add_u32 v0, s6, 8, v0
	v_ashrrev_i32_e32 v1, 31, v0
	s_waitcnt lgkmcnt(0)
	v_cmp_gt_i64_e32 vcc, s[8:9], v[0:1]
	s_and_saveexec_b64 s[0:1], vcc
	s_cbranch_execz .LBB3_6
; %bb.1:
	s_load_dword s0, s[4:5], 0x4
	s_load_dword s2, s[4:5], 0x58
	s_load_dwordx4 s[24:27], s[4:5], 0x60
	v_add_u32_e32 v4, 1, v0
	v_sub_u32_e32 v5, 0, v4
	s_waitcnt lgkmcnt(0)
	s_abs_i32 s1, s0
	v_cvt_f32_u32_e32 v2, s1
	s_sub_i32 s3, 0, s1
	v_max_i32_e32 v5, v4, v5
	v_xor_b32_e32 v6, s0, v4
	v_rcp_iflag_f32_e32 v2, v2
	v_ashrrev_i32_e32 v6, 31, v6
	v_mov_b32_e32 v11, s11
	v_mov_b32_e32 v12, s13
	v_mul_f32_e32 v2, 0x4f7ffffe, v2
	v_cvt_u32_f32_e32 v2, v2
	v_lshlrev_b64 v[0:1], 2, v[0:1]
	v_mov_b32_e32 v13, s27
	v_mov_b32_e32 v14, s27
	v_mul_lo_u32 v3, s3, v2
	v_mul_hi_u32 v3, v2, v3
	v_add_u32_e32 v2, v2, v3
	v_mul_hi_u32 v2, v5, v2
	v_mul_lo_u32 v3, v2, s1
	v_add_u32_e32 v7, 1, v2
	v_sub_u32_e32 v3, v5, v3
	v_cmp_le_u32_e32 vcc, s1, v3
	v_subrev_u32_e32 v5, s1, v3
	v_cndmask_b32_e32 v2, v2, v7, vcc
	v_cndmask_b32_e32 v3, v3, v5, vcc
	v_add_u32_e32 v5, 1, v2
	v_cmp_le_u32_e32 vcc, s1, v3
	v_cndmask_b32_e32 v2, v2, v5, vcc
	v_xor_b32_e32 v3, v2, v6
	v_sub_u32_e32 v2, v3, v6
	v_mul_lo_u32 v2, v2, s0
	v_mov_b32_e32 v5, s0
	v_sub_u32_e32 v2, v4, v2
	v_cmp_eq_u32_e32 vcc, 0, v2
	v_cndmask_b32_e32 v2, v2, v5, vcc
	v_subb_co_u32_e32 v4, vcc, v3, v6, vcc
	v_ashrrev_i32_e32 v3, 31, v2
	v_lshlrev_b64 v[6:7], 2, v[2:3]
	v_ashrrev_i32_e32 v5, 31, v4
	v_add_co_u32_e32 v10, vcc, s10, v6
	v_addc_co_u32_e32 v11, vcc, v11, v7, vcc
	v_lshlrev_b64 v[8:9], 2, v[4:5]
	v_add_co_u32_e32 v5, vcc, s12, v6
	v_addc_co_u32_e32 v6, vcc, v12, v7, vcc
	global_load_dword v7, v[10:11], off offset:-4
	global_load_dword v12, v[5:6], off offset:-4
	v_mov_b32_e32 v6, s17
	v_add_co_u32_e32 v5, vcc, s16, v8
	v_addc_co_u32_e32 v6, vcc, v6, v9, vcc
	global_load_dword v10, v[5:6], off
	v_mov_b32_e32 v6, s15
	v_add_co_u32_e32 v5, vcc, s14, v8
	v_addc_co_u32_e32 v6, vcc, v6, v9, vcc
	global_load_dword v8, v[5:6], off
	v_mul_lo_u32 v6, v4, s0
	v_mov_b32_e32 v5, s27
	v_add_co_u32_e32 v4, vcc, s26, v0
	v_addc_co_u32_e32 v5, vcc, v5, v1, vcc
	global_load_dword v15, v[4:5], off
	v_mov_b32_e32 v9, s27
	v_mov_b32_e32 v11, s27
	s_waitcnt vmcnt(4)
	v_add_u32_e32 v4, v6, v7
	v_ashrrev_i32_e32 v5, 31, v4
	s_waitcnt vmcnt(3)
	v_add_u32_e32 v6, v12, v6
	v_lshlrev_b64 v[4:5], 2, v[4:5]
	v_ashrrev_i32_e32 v7, 31, v6
	v_lshlrev_b64 v[6:7], 2, v[6:7]
	v_add_co_u32_e32 v4, vcc, s26, v4
	s_waitcnt vmcnt(2)
	v_mul_lo_u32 v10, v10, s0
	v_addc_co_u32_e32 v5, vcc, v9, v5, vcc
	v_add_co_u32_e32 v6, vcc, s26, v6
	s_waitcnt vmcnt(1)
	v_mul_lo_u32 v8, v8, s0
	v_addc_co_u32_e32 v7, vcc, v11, v7, vcc
	global_load_dword v9, v[4:5], off
	global_load_dword v11, v[6:7], off
	v_ashrrev_i32_e32 v5, 31, v10
	v_add_co_u32_e32 v4, vcc, v10, v2
	v_addc_co_u32_e32 v5, vcc, v5, v3, vcc
	v_ashrrev_i32_e32 v6, 31, v8
	v_add_co_u32_e32 v2, vcc, v8, v2
	v_lshlrev_b64 v[4:5], 2, v[4:5]
	v_addc_co_u32_e32 v3, vcc, v6, v3, vcc
	v_lshlrev_b64 v[2:3], 2, v[2:3]
	v_add_co_u32_e32 v4, vcc, s26, v4
	v_addc_co_u32_e32 v5, vcc, v13, v5, vcc
	v_add_co_u32_e32 v2, vcc, s26, v2
	v_addc_co_u32_e32 v3, vcc, v14, v3, vcc
	global_load_dword v6, v[4:5], off offset:-4
	global_load_dword v7, v[2:3], off offset:-4
	s_waitcnt vmcnt(4)
	v_mul_f32_e32 v8, v15, v15
	s_waitcnt vmcnt(3)
	v_sub_f32_e32 v4, v9, v15
	s_waitcnt vmcnt(2)
	v_sub_f32_e32 v2, v11, v15
	v_mul_f32_e32 v9, v2, v2
	v_fmac_f32_e32 v9, v4, v4
	v_add_f32_e32 v10, v4, v2
	s_waitcnt vmcnt(1)
	v_sub_f32_e32 v5, v6, v15
	s_waitcnt vmcnt(0)
	v_sub_f32_e32 v3, v7, v15
	v_fmac_f32_e32 v9, v5, v5
	v_add_f32_e32 v6, v10, v5
	v_fmac_f32_e32 v9, v3, v3
	v_add_f32_e32 v6, v6, v3
	v_div_scale_f32 v7, s[0:1], v8, v8, v9
	v_div_scale_f32 v10, s[0:1], v15, v15, v6
	v_div_scale_f32 v11, vcc, v9, v8, v9
	v_div_scale_f32 v12, s[0:1], v6, v15, v6
	v_rcp_f32_e32 v13, v7
	v_rcp_f32_e32 v14, v10
	v_fma_f32 v16, -v7, v13, 1.0
	v_fmac_f32_e32 v13, v16, v13
	v_fma_f32 v17, -v10, v14, 1.0
	v_fmac_f32_e32 v14, v17, v14
	v_mul_f32_e32 v16, v11, v13
	v_mul_f32_e32 v17, v12, v14
	v_fma_f32 v18, -v7, v16, v11
	v_fma_f32 v19, -v10, v17, v12
	v_fmac_f32_e32 v16, v18, v13
	v_fmac_f32_e32 v17, v19, v14
	v_fma_f32 v7, -v7, v16, v11
	v_fma_f32 v10, -v10, v17, v12
	v_div_fmas_f32 v7, v7, v13, v16
	s_mov_b64 vcc, s[0:1]
	v_div_fmas_f32 v10, v10, v14, v17
	s_mov_b32 s0, 0x3e800000
	v_div_fixup_f32 v7, v7, v8, v9
	v_div_fixup_f32 v6, v10, v15, v6
	v_mul_f32_e32 v8, v6, v6
	v_fma_f32 v6, v6, s0, 1.0
	v_mul_f32_e32 v8, 0xbd800000, v8
	v_mul_f32_e32 v6, v6, v6
	v_fmac_f32_e32 v8, 0.5, v7
	v_div_scale_f32 v7, s[0:1], v6, v6, v8
	v_div_scale_f32 v9, vcc, v8, v6, v8
	v_rcp_f32_e32 v10, v7
	v_fma_f32 v11, -v7, v10, 1.0
	v_fmac_f32_e32 v10, v11, v10
	v_mul_f32_e32 v11, v9, v10
	v_fma_f32 v12, -v7, v11, v9
	v_fmac_f32_e32 v11, v12, v10
	v_fma_f32 v7, -v7, v11, v9
	v_div_fmas_f32 v7, v7, v10, v11
	v_add_f32_e64 v9, s2, 1.0
	v_mul_f32_e32 v9, s2, v9
	v_div_fixup_f32 v6, v7, v6, v8
	v_subrev_f32_e32 v6, s2, v6
	v_div_scale_f32 v7, s[0:1], v9, v9, v6
	v_div_scale_f32 v8, vcc, v6, v9, v6
	v_rcp_f32_e32 v10, v7
	v_fma_f32 v11, -v7, v10, 1.0
	v_fmac_f32_e32 v10, v11, v10
	v_mul_f32_e32 v11, v8, v10
	v_fma_f32 v12, -v7, v11, v8
	v_fmac_f32_e32 v11, v12, v10
	v_fma_f32 v7, -v7, v11, v8
	v_div_fmas_f32 v7, v7, v10, v11
	v_div_fixup_f32 v6, v7, v9, v6
	v_add_f32_e32 v6, 1.0, v6
	v_div_scale_f32 v7, s[0:1], v6, v6, 1.0
	v_div_scale_f32 v8, vcc, 1.0, v6, 1.0
	v_rcp_f32_e32 v9, v7
	v_fma_f32 v10, -v7, v9, 1.0
	v_fmac_f32_e32 v9, v10, v9
	v_mul_f32_e32 v10, v8, v9
	v_fma_f32 v11, -v7, v10, v8
	v_fmac_f32_e32 v10, v11, v9
	v_fma_f32 v7, -v7, v10, v8
	v_div_fmas_f32 v7, v7, v9, v10
	v_div_fixup_f32 v7, v7, v6, 1.0
	v_mov_b32_e32 v6, 0
	v_cmp_ngt_f32_e32 vcc, 0, v7
	s_and_saveexec_b64 s[0:1], vcc
	s_cbranch_execz .LBB3_5
; %bb.2:
	v_cmp_lt_f32_e32 vcc, 1.0, v7
	s_and_saveexec_b64 s[2:3], vcc
; %bb.3:
	v_mov_b32_e32 v7, 1.0
; %bb.4:
	s_or_b64 exec, exec, s[2:3]
	v_mov_b32_e32 v6, v7
.LBB3_5:
	s_or_b64 exec, exec, s[0:1]
	s_load_dwordx2 s[0:1], s[4:5], 0x50
	v_mov_b32_e32 v8, s19
	v_add_co_u32_e32 v7, vcc, s18, v0
	v_addc_co_u32_e32 v8, vcc, v8, v1, vcc
	global_store_dword v[7:8], v4, off
	v_mov_b32_e32 v4, s21
	v_add_co_u32_e32 v7, vcc, s20, v0
	v_addc_co_u32_e32 v8, vcc, v4, v1, vcc
	global_store_dword v[7:8], v2, off
	s_waitcnt lgkmcnt(0)
	v_mov_b32_e32 v2, s1
	v_add_co_u32_e32 v7, vcc, s0, v0
	v_addc_co_u32_e32 v8, vcc, v2, v1, vcc
	v_mov_b32_e32 v2, s23
	v_add_co_u32_e32 v4, vcc, s22, v0
	global_store_dword v[7:8], v5, off
	v_addc_co_u32_e32 v5, vcc, v2, v1, vcc
	v_mov_b32_e32 v2, s25
	v_add_co_u32_e32 v0, vcc, s24, v0
	v_addc_co_u32_e32 v1, vcc, v2, v1, vcc
	global_store_dword v[4:5], v3, off
	global_store_dword v[0:1], v6, off
.LBB3_6:
	s_endpgm
	.section	.rodata,"a",@progbits
	.p2align	6, 0x0
	.amdhsa_kernel _Z4sradfiilPKiS0_S0_S0_PfS1_S1_S1_fS1_PKf
		.amdhsa_group_segment_fixed_size 0
		.amdhsa_private_segment_fixed_size 0
		.amdhsa_kernarg_size 112
		.amdhsa_user_sgpr_count 6
		.amdhsa_user_sgpr_private_segment_buffer 1
		.amdhsa_user_sgpr_dispatch_ptr 0
		.amdhsa_user_sgpr_queue_ptr 0
		.amdhsa_user_sgpr_kernarg_segment_ptr 1
		.amdhsa_user_sgpr_dispatch_id 0
		.amdhsa_user_sgpr_flat_scratch_init 0
		.amdhsa_user_sgpr_private_segment_size 0
		.amdhsa_uses_dynamic_stack 0
		.amdhsa_system_sgpr_private_segment_wavefront_offset 0
		.amdhsa_system_sgpr_workgroup_id_x 1
		.amdhsa_system_sgpr_workgroup_id_y 0
		.amdhsa_system_sgpr_workgroup_id_z 0
		.amdhsa_system_sgpr_workgroup_info 0
		.amdhsa_system_vgpr_workitem_id 0
		.amdhsa_next_free_vgpr 20
		.amdhsa_next_free_sgpr 28
		.amdhsa_reserve_vcc 1
		.amdhsa_reserve_flat_scratch 0
		.amdhsa_float_round_mode_32 0
		.amdhsa_float_round_mode_16_64 0
		.amdhsa_float_denorm_mode_32 3
		.amdhsa_float_denorm_mode_16_64 3
		.amdhsa_dx10_clamp 1
		.amdhsa_ieee_mode 1
		.amdhsa_fp16_overflow 0
		.amdhsa_exception_fp_ieee_invalid_op 0
		.amdhsa_exception_fp_denorm_src 0
		.amdhsa_exception_fp_ieee_div_zero 0
		.amdhsa_exception_fp_ieee_overflow 0
		.amdhsa_exception_fp_ieee_underflow 0
		.amdhsa_exception_fp_ieee_inexact 0
		.amdhsa_exception_int_div_zero 0
	.end_amdhsa_kernel
	.text
.Lfunc_end3:
	.size	_Z4sradfiilPKiS0_S0_S0_PfS1_S1_S1_fS1_PKf, .Lfunc_end3-_Z4sradfiilPKiS0_S0_S0_PfS1_S1_S1_fS1_PKf
                                        ; -- End function
	.set _Z4sradfiilPKiS0_S0_S0_PfS1_S1_S1_fS1_PKf.num_vgpr, 20
	.set _Z4sradfiilPKiS0_S0_S0_PfS1_S1_S1_fS1_PKf.num_agpr, 0
	.set _Z4sradfiilPKiS0_S0_S0_PfS1_S1_S1_fS1_PKf.numbered_sgpr, 28
	.set _Z4sradfiilPKiS0_S0_S0_PfS1_S1_S1_fS1_PKf.num_named_barrier, 0
	.set _Z4sradfiilPKiS0_S0_S0_PfS1_S1_S1_fS1_PKf.private_seg_size, 0
	.set _Z4sradfiilPKiS0_S0_S0_PfS1_S1_S1_fS1_PKf.uses_vcc, 1
	.set _Z4sradfiilPKiS0_S0_S0_PfS1_S1_S1_fS1_PKf.uses_flat_scratch, 0
	.set _Z4sradfiilPKiS0_S0_S0_PfS1_S1_S1_fS1_PKf.has_dyn_sized_stack, 0
	.set _Z4sradfiilPKiS0_S0_S0_PfS1_S1_S1_fS1_PKf.has_recursion, 0
	.set _Z4sradfiilPKiS0_S0_S0_PfS1_S1_S1_fS1_PKf.has_indirect_call, 0
	.section	.AMDGPU.csdata,"",@progbits
; Kernel info:
; codeLenInByte = 1188
; TotalNumSgprs: 32
; NumVgprs: 20
; ScratchSize: 0
; MemoryBound: 0
; FloatMode: 240
; IeeeMode: 1
; LDSByteSize: 0 bytes/workgroup (compile time only)
; SGPRBlocks: 3
; VGPRBlocks: 4
; NumSGPRsForWavesPerEU: 32
; NumVGPRsForWavesPerEU: 20
; Occupancy: 10
; WaveLimiterHint : 1
; COMPUTE_PGM_RSRC2:SCRATCH_EN: 0
; COMPUTE_PGM_RSRC2:USER_SGPR: 6
; COMPUTE_PGM_RSRC2:TRAP_HANDLER: 0
; COMPUTE_PGM_RSRC2:TGID_X_EN: 1
; COMPUTE_PGM_RSRC2:TGID_Y_EN: 0
; COMPUTE_PGM_RSRC2:TGID_Z_EN: 0
; COMPUTE_PGM_RSRC2:TIDIG_COMP_CNT: 0
	.text
	.protected	_Z5srad2fiilPKiS0_S0_S0_PKfS2_S2_S2_S2_Pf ; -- Begin function _Z5srad2fiilPKiS0_S0_S0_PKfS2_S2_S2_S2_Pf
	.globl	_Z5srad2fiilPKiS0_S0_S0_PKfS2_S2_S2_S2_Pf
	.p2align	8
	.type	_Z5srad2fiilPKiS0_S0_S0_PKfS2_S2_S2_S2_Pf,@function
_Z5srad2fiilPKiS0_S0_S0_PKfS2_S2_S2_S2_Pf: ; @_Z5srad2fiilPKiS0_S0_S0_PKfS2_S2_S2_S2_Pf
; %bb.0:
	s_load_dwordx2 s[0:1], s[4:5], 0x10
	v_lshl_add_u32 v0, s6, 8, v0
	v_ashrrev_i32_e32 v1, 31, v0
	s_waitcnt lgkmcnt(0)
	v_cmp_gt_i64_e32 vcc, s[0:1], v[0:1]
	s_and_saveexec_b64 s[0:1], vcc
	s_cbranch_execz .LBB4_2
; %bb.1:
	s_load_dwordx2 s[6:7], s[4:5], 0x0
	s_load_dwordx4 s[0:3], s[4:5], 0x20
	v_add_u32_e32 v4, 1, v0
	v_sub_u32_e32 v5, 0, v4
	v_max_i32_e32 v5, v4, v5
	s_waitcnt lgkmcnt(0)
	s_abs_i32 s8, s7
	v_cvt_f32_u32_e32 v2, s8
	s_sub_i32 s9, 0, s8
	v_xor_b32_e32 v6, s7, v4
	v_ashrrev_i32_e32 v6, 31, v6
	v_rcp_iflag_f32_e32 v2, v2
	v_mov_b32_e32 v10, s1
	v_mov_b32_e32 v11, s3
	v_lshlrev_b64 v[0:1], 2, v[0:1]
	v_mul_f32_e32 v2, 0x4f7ffffe, v2
	v_cvt_u32_f32_e32 v2, v2
	v_mul_lo_u32 v3, s9, v2
	v_mul_hi_u32 v3, v2, v3
	v_add_u32_e32 v2, v2, v3
	v_mul_hi_u32 v2, v5, v2
	v_mul_lo_u32 v3, v2, s8
	v_add_u32_e32 v7, 1, v2
	v_sub_u32_e32 v3, v5, v3
	v_cmp_le_u32_e32 vcc, s8, v3
	v_subrev_u32_e32 v5, s8, v3
	v_cndmask_b32_e32 v2, v2, v7, vcc
	v_cndmask_b32_e32 v3, v3, v5, vcc
	v_add_u32_e32 v5, 1, v2
	v_cmp_le_u32_e32 vcc, s8, v3
	v_cndmask_b32_e32 v2, v2, v5, vcc
	v_xor_b32_e32 v3, v2, v6
	v_sub_u32_e32 v2, v3, v6
	v_mul_lo_u32 v2, v2, s7
	v_mov_b32_e32 v5, s7
	v_sub_u32_e32 v2, v4, v2
	v_cmp_eq_u32_e32 vcc, 0, v2
	v_cndmask_b32_e32 v2, v2, v5, vcc
	v_subb_co_u32_e32 v4, vcc, v3, v6, vcc
	v_ashrrev_i32_e32 v3, 31, v2
	v_lshlrev_b64 v[6:7], 2, v[2:3]
	v_ashrrev_i32_e32 v5, 31, v4
	v_lshlrev_b64 v[8:9], 2, v[4:5]
	v_add_co_u32_e32 v5, vcc, s0, v6
	v_addc_co_u32_e32 v6, vcc, v10, v7, vcc
	global_load_dword v5, v[5:6], off offset:-4
	v_add_co_u32_e32 v6, vcc, s2, v8
	v_addc_co_u32_e32 v7, vcc, v11, v9, vcc
	global_load_dword v16, v[6:7], off
	s_load_dwordx4 s[0:3], s[4:5], 0x58
	s_load_dwordx8 s[8:15], s[4:5], 0x38
	s_waitcnt lgkmcnt(0)
	v_mov_b32_e32 v7, s1
	v_add_co_u32_e32 v6, vcc, s0, v0
	v_addc_co_u32_e32 v7, vcc, v7, v1, vcc
	global_load_dword v6, v[6:7], off
	v_mov_b32_e32 v9, s9
	v_add_co_u32_e32 v8, vcc, s8, v0
	v_addc_co_u32_e32 v9, vcc, v9, v1, vcc
	v_mov_b32_e32 v11, s11
	v_add_co_u32_e32 v10, vcc, s10, v0
	v_addc_co_u32_e32 v11, vcc, v11, v1, vcc
	;; [unrolled: 3-line block ×3, first 2 shown]
	global_load_dword v10, v[10:11], off
	v_mov_b32_e32 v15, s13
	global_load_dword v11, v[12:13], off
	v_add_co_u32_e32 v14, vcc, s12, v0
	v_addc_co_u32_e32 v15, vcc, v15, v1, vcc
	global_load_dword v13, v[14:15], off
	v_mov_b32_e32 v17, s1
	v_mov_b32_e32 v7, s1
	global_load_dword v8, v[8:9], off
	v_mov_b32_e32 v9, s3
	s_waitcnt vmcnt(5)
	v_mul_lo_u32 v12, v16, s7
	v_ashrrev_i32_e32 v14, 31, v12
	v_add_co_u32_e32 v2, vcc, v12, v2
	v_addc_co_u32_e32 v3, vcc, v14, v3, vcc
	v_lshlrev_b64 v[2:3], 2, v[2:3]
	s_waitcnt vmcnt(4)
	v_mad_u64_u32 v[4:5], s[4:5], v4, s7, v[5:6]
	v_ashrrev_i32_e32 v5, 31, v4
	v_lshlrev_b64 v[4:5], 2, v[4:5]
	v_add_co_u32_e32 v4, vcc, s0, v4
	v_addc_co_u32_e32 v5, vcc, v17, v5, vcc
	global_load_dword v4, v[4:5], off
	v_add_co_u32_e32 v2, vcc, s0, v2
	v_addc_co_u32_e32 v3, vcc, v7, v3, vcc
	v_add_co_u32_e32 v0, vcc, s2, v0
	global_load_dword v2, v[2:3], off offset:-4
	v_addc_co_u32_e32 v1, vcc, v9, v1, vcc
	global_load_dword v3, v[0:1], off
	v_mov_b32_e32 v5, 0x3e800000
	s_waitcnt vmcnt(2)
	v_mul_f32_e32 v4, v4, v10
	v_fmac_f32_e32 v4, v6, v8
	v_fmac_f32_e32 v4, v6, v11
	s_waitcnt vmcnt(1)
	v_fmac_f32_e32 v4, v2, v13
	v_mul_f32_e32 v2, s6, v5
	s_waitcnt vmcnt(0)
	v_fmac_f32_e32 v3, v2, v4
	global_store_dword v[0:1], v3, off
.LBB4_2:
	s_endpgm
	.section	.rodata,"a",@progbits
	.p2align	6, 0x0
	.amdhsa_kernel _Z5srad2fiilPKiS0_S0_S0_PKfS2_S2_S2_S2_Pf
		.amdhsa_group_segment_fixed_size 0
		.amdhsa_private_segment_fixed_size 0
		.amdhsa_kernarg_size 104
		.amdhsa_user_sgpr_count 6
		.amdhsa_user_sgpr_private_segment_buffer 1
		.amdhsa_user_sgpr_dispatch_ptr 0
		.amdhsa_user_sgpr_queue_ptr 0
		.amdhsa_user_sgpr_kernarg_segment_ptr 1
		.amdhsa_user_sgpr_dispatch_id 0
		.amdhsa_user_sgpr_flat_scratch_init 0
		.amdhsa_user_sgpr_private_segment_size 0
		.amdhsa_uses_dynamic_stack 0
		.amdhsa_system_sgpr_private_segment_wavefront_offset 0
		.amdhsa_system_sgpr_workgroup_id_x 1
		.amdhsa_system_sgpr_workgroup_id_y 0
		.amdhsa_system_sgpr_workgroup_id_z 0
		.amdhsa_system_sgpr_workgroup_info 0
		.amdhsa_system_vgpr_workitem_id 0
		.amdhsa_next_free_vgpr 18
		.amdhsa_next_free_sgpr 16
		.amdhsa_reserve_vcc 1
		.amdhsa_reserve_flat_scratch 0
		.amdhsa_float_round_mode_32 0
		.amdhsa_float_round_mode_16_64 0
		.amdhsa_float_denorm_mode_32 3
		.amdhsa_float_denorm_mode_16_64 3
		.amdhsa_dx10_clamp 1
		.amdhsa_ieee_mode 1
		.amdhsa_fp16_overflow 0
		.amdhsa_exception_fp_ieee_invalid_op 0
		.amdhsa_exception_fp_denorm_src 0
		.amdhsa_exception_fp_ieee_div_zero 0
		.amdhsa_exception_fp_ieee_overflow 0
		.amdhsa_exception_fp_ieee_underflow 0
		.amdhsa_exception_fp_ieee_inexact 0
		.amdhsa_exception_int_div_zero 0
	.end_amdhsa_kernel
	.text
.Lfunc_end4:
	.size	_Z5srad2fiilPKiS0_S0_S0_PKfS2_S2_S2_S2_Pf, .Lfunc_end4-_Z5srad2fiilPKiS0_S0_S0_PKfS2_S2_S2_S2_Pf
                                        ; -- End function
	.set _Z5srad2fiilPKiS0_S0_S0_PKfS2_S2_S2_S2_Pf.num_vgpr, 18
	.set _Z5srad2fiilPKiS0_S0_S0_PKfS2_S2_S2_S2_Pf.num_agpr, 0
	.set _Z5srad2fiilPKiS0_S0_S0_PKfS2_S2_S2_S2_Pf.numbered_sgpr, 16
	.set _Z5srad2fiilPKiS0_S0_S0_PKfS2_S2_S2_S2_Pf.num_named_barrier, 0
	.set _Z5srad2fiilPKiS0_S0_S0_PKfS2_S2_S2_S2_Pf.private_seg_size, 0
	.set _Z5srad2fiilPKiS0_S0_S0_PKfS2_S2_S2_S2_Pf.uses_vcc, 1
	.set _Z5srad2fiilPKiS0_S0_S0_PKfS2_S2_S2_S2_Pf.uses_flat_scratch, 0
	.set _Z5srad2fiilPKiS0_S0_S0_PKfS2_S2_S2_S2_Pf.has_dyn_sized_stack, 0
	.set _Z5srad2fiilPKiS0_S0_S0_PKfS2_S2_S2_S2_Pf.has_recursion, 0
	.set _Z5srad2fiilPKiS0_S0_S0_PKfS2_S2_S2_S2_Pf.has_indirect_call, 0
	.section	.AMDGPU.csdata,"",@progbits
; Kernel info:
; codeLenInByte = 576
; TotalNumSgprs: 20
; NumVgprs: 18
; ScratchSize: 0
; MemoryBound: 0
; FloatMode: 240
; IeeeMode: 1
; LDSByteSize: 0 bytes/workgroup (compile time only)
; SGPRBlocks: 2
; VGPRBlocks: 4
; NumSGPRsForWavesPerEU: 20
; NumVGPRsForWavesPerEU: 18
; Occupancy: 10
; WaveLimiterHint : 1
; COMPUTE_PGM_RSRC2:SCRATCH_EN: 0
; COMPUTE_PGM_RSRC2:USER_SGPR: 6
; COMPUTE_PGM_RSRC2:TRAP_HANDLER: 0
; COMPUTE_PGM_RSRC2:TGID_X_EN: 1
; COMPUTE_PGM_RSRC2:TGID_Y_EN: 0
; COMPUTE_PGM_RSRC2:TGID_Z_EN: 0
; COMPUTE_PGM_RSRC2:TIDIG_COMP_CNT: 0
	.text
	.protected	_Z8compresslPf          ; -- Begin function _Z8compresslPf
	.globl	_Z8compresslPf
	.p2align	8
	.type	_Z8compresslPf,@function
_Z8compresslPf:                         ; @_Z8compresslPf
; %bb.0:
	s_load_dwordx4 s[0:3], s[4:5], 0x0
	v_lshl_add_u32 v0, s6, 8, v0
	v_ashrrev_i32_e32 v1, 31, v0
	s_waitcnt lgkmcnt(0)
	v_cmp_gt_i64_e32 vcc, s[0:1], v[0:1]
	s_and_saveexec_b64 s[0:1], vcc
	s_cbranch_execz .LBB5_2
; %bb.1:
	v_lshlrev_b64 v[0:1], 2, v[0:1]
	v_mov_b32_e32 v2, s3
	v_add_co_u32_e32 v0, vcc, s2, v0
	v_addc_co_u32_e32 v1, vcc, v2, v1, vcc
	global_load_dword v2, v[0:1], off
	s_mov_b32 s0, 0x800000
	s_mov_b32 s1, 0x7f800000
	s_waitcnt vmcnt(0)
	v_cmp_gt_f32_e32 vcc, s0, v2
	v_cndmask_b32_e64 v3, 0, 32, vcc
	v_ldexp_f32 v2, v2, v3
	v_log_f32_e32 v2, v2
	s_mov_b32 s0, 0x3f317217
	v_mov_b32_e32 v3, 0x41b17218
	v_cndmask_b32_e32 v3, 0, v3, vcc
	v_mul_f32_e32 v4, 0x3f317217, v2
	v_fma_f32 v4, v2, s0, -v4
	v_fmac_f32_e32 v4, 0x3377d1cf, v2
	v_fmac_f32_e32 v4, 0x3f317217, v2
	v_cmp_lt_f32_e64 s[0:1], |v2|, s1
	v_cndmask_b32_e64 v2, v2, v4, s[0:1]
	v_sub_f32_e32 v2, v2, v3
	v_mul_f32_e32 v2, 0x437f0000, v2
	global_store_dword v[0:1], v2, off
.LBB5_2:
	s_endpgm
	.section	.rodata,"a",@progbits
	.p2align	6, 0x0
	.amdhsa_kernel _Z8compresslPf
		.amdhsa_group_segment_fixed_size 0
		.amdhsa_private_segment_fixed_size 0
		.amdhsa_kernarg_size 16
		.amdhsa_user_sgpr_count 6
		.amdhsa_user_sgpr_private_segment_buffer 1
		.amdhsa_user_sgpr_dispatch_ptr 0
		.amdhsa_user_sgpr_queue_ptr 0
		.amdhsa_user_sgpr_kernarg_segment_ptr 1
		.amdhsa_user_sgpr_dispatch_id 0
		.amdhsa_user_sgpr_flat_scratch_init 0
		.amdhsa_user_sgpr_private_segment_size 0
		.amdhsa_uses_dynamic_stack 0
		.amdhsa_system_sgpr_private_segment_wavefront_offset 0
		.amdhsa_system_sgpr_workgroup_id_x 1
		.amdhsa_system_sgpr_workgroup_id_y 0
		.amdhsa_system_sgpr_workgroup_id_z 0
		.amdhsa_system_sgpr_workgroup_info 0
		.amdhsa_system_vgpr_workitem_id 0
		.amdhsa_next_free_vgpr 5
		.amdhsa_next_free_sgpr 7
		.amdhsa_reserve_vcc 1
		.amdhsa_reserve_flat_scratch 0
		.amdhsa_float_round_mode_32 0
		.amdhsa_float_round_mode_16_64 0
		.amdhsa_float_denorm_mode_32 3
		.amdhsa_float_denorm_mode_16_64 3
		.amdhsa_dx10_clamp 1
		.amdhsa_ieee_mode 1
		.amdhsa_fp16_overflow 0
		.amdhsa_exception_fp_ieee_invalid_op 0
		.amdhsa_exception_fp_denorm_src 0
		.amdhsa_exception_fp_ieee_div_zero 0
		.amdhsa_exception_fp_ieee_overflow 0
		.amdhsa_exception_fp_ieee_underflow 0
		.amdhsa_exception_fp_ieee_inexact 0
		.amdhsa_exception_int_div_zero 0
	.end_amdhsa_kernel
	.text
.Lfunc_end5:
	.size	_Z8compresslPf, .Lfunc_end5-_Z8compresslPf
                                        ; -- End function
	.set _Z8compresslPf.num_vgpr, 5
	.set _Z8compresslPf.num_agpr, 0
	.set _Z8compresslPf.numbered_sgpr, 7
	.set _Z8compresslPf.num_named_barrier, 0
	.set _Z8compresslPf.private_seg_size, 0
	.set _Z8compresslPf.uses_vcc, 1
	.set _Z8compresslPf.uses_flat_scratch, 0
	.set _Z8compresslPf.has_dyn_sized_stack, 0
	.set _Z8compresslPf.has_recursion, 0
	.set _Z8compresslPf.has_indirect_call, 0
	.section	.AMDGPU.csdata,"",@progbits
; Kernel info:
; codeLenInByte = 200
; TotalNumSgprs: 11
; NumVgprs: 5
; ScratchSize: 0
; MemoryBound: 0
; FloatMode: 240
; IeeeMode: 1
; LDSByteSize: 0 bytes/workgroup (compile time only)
; SGPRBlocks: 1
; VGPRBlocks: 1
; NumSGPRsForWavesPerEU: 11
; NumVGPRsForWavesPerEU: 5
; Occupancy: 10
; WaveLimiterHint : 0
; COMPUTE_PGM_RSRC2:SCRATCH_EN: 0
; COMPUTE_PGM_RSRC2:USER_SGPR: 6
; COMPUTE_PGM_RSRC2:TRAP_HANDLER: 0
; COMPUTE_PGM_RSRC2:TGID_X_EN: 1
; COMPUTE_PGM_RSRC2:TGID_Y_EN: 0
; COMPUTE_PGM_RSRC2:TGID_Z_EN: 0
; COMPUTE_PGM_RSRC2:TIDIG_COMP_CNT: 0
	.section	.AMDGPU.gpr_maximums,"",@progbits
	.set amdgpu.max_num_vgpr, 0
	.set amdgpu.max_num_agpr, 0
	.set amdgpu.max_num_sgpr, 0
	.section	.AMDGPU.csdata,"",@progbits
	.type	__hip_cuid_c4edcea393a4bed3,@object ; @__hip_cuid_c4edcea393a4bed3
	.section	.bss,"aw",@nobits
	.globl	__hip_cuid_c4edcea393a4bed3
__hip_cuid_c4edcea393a4bed3:
	.byte	0                               ; 0x0
	.size	__hip_cuid_c4edcea393a4bed3, 1

	.ident	"AMD clang version 22.0.0git (https://github.com/RadeonOpenCompute/llvm-project roc-7.2.4 26084 f58b06dce1f9c15707c5f808fd002e18c2accf7e)"
	.section	".note.GNU-stack","",@progbits
	.addrsig
	.addrsig_sym __hip_cuid_c4edcea393a4bed3
	.amdgpu_metadata
---
amdhsa.kernels:
  - .args:
      - .offset:         0
        .size:           8
        .value_kind:     by_value
      - .address_space:  global
        .offset:         8
        .size:           8
        .value_kind:     global_buffer
    .group_segment_fixed_size: 0
    .kernarg_segment_align: 8
    .kernarg_segment_size: 16
    .language:       OpenCL C
    .language_version:
      - 2
      - 0
    .max_flat_workgroup_size: 1024
    .name:           _Z7extractlPf
    .private_segment_fixed_size: 0
    .sgpr_count:     11
    .sgpr_spill_count: 0
    .symbol:         _Z7extractlPf.kd
    .uniform_work_group_size: 1
    .uses_dynamic_stack: false
    .vgpr_count:     8
    .vgpr_spill_count: 0
    .wavefront_size: 64
  - .args:
      - .offset:         0
        .size:           8
        .value_kind:     by_value
      - .address_space:  global
        .offset:         8
        .size:           8
        .value_kind:     global_buffer
      - .address_space:  global
        .offset:         16
        .size:           8
        .value_kind:     global_buffer
      - .address_space:  global
        .offset:         24
        .size:           8
        .value_kind:     global_buffer
    .group_segment_fixed_size: 0
    .kernarg_segment_align: 8
    .kernarg_segment_size: 32
    .language:       OpenCL C
    .language_version:
      - 2
      - 0
    .max_flat_workgroup_size: 1024
    .name:           _Z7preparelPKfPfS1_
    .private_segment_fixed_size: 0
    .sgpr_count:     20
    .sgpr_spill_count: 0
    .symbol:         _Z7preparelPKfPfS1_.kd
    .uniform_work_group_size: 1
    .uses_dynamic_stack: false
    .vgpr_count:     6
    .vgpr_spill_count: 0
    .wavefront_size: 64
  - .args:
      - .offset:         0
        .size:           8
        .value_kind:     by_value
      - .offset:         8
        .size:           4
        .value_kind:     by_value
      - .offset:         12
        .size:           4
        .value_kind:     by_value
      - .address_space:  global
        .offset:         16
        .size:           8
        .value_kind:     global_buffer
      - .address_space:  global
        .offset:         24
        .size:           8
        .value_kind:     global_buffer
      - .offset:         32
        .size:           4
        .value_kind:     hidden_block_count_x
      - .offset:         36
        .size:           4
        .value_kind:     hidden_block_count_y
      - .offset:         40
        .size:           4
        .value_kind:     hidden_block_count_z
      - .offset:         44
        .size:           2
        .value_kind:     hidden_group_size_x
      - .offset:         46
        .size:           2
        .value_kind:     hidden_group_size_y
      - .offset:         48
        .size:           2
        .value_kind:     hidden_group_size_z
      - .offset:         50
        .size:           2
        .value_kind:     hidden_remainder_x
      - .offset:         52
        .size:           2
        .value_kind:     hidden_remainder_y
      - .offset:         54
        .size:           2
        .value_kind:     hidden_remainder_z
      - .offset:         72
        .size:           8
        .value_kind:     hidden_global_offset_x
      - .offset:         80
        .size:           8
        .value_kind:     hidden_global_offset_y
      - .offset:         88
        .size:           8
        .value_kind:     hidden_global_offset_z
      - .offset:         96
        .size:           2
        .value_kind:     hidden_grid_dims
    .group_segment_fixed_size: 2048
    .kernarg_segment_align: 8
    .kernarg_segment_size: 288
    .language:       OpenCL C
    .language_version:
      - 2
      - 0
    .max_flat_workgroup_size: 1024
    .name:           _Z6reduceliiPfS_
    .private_segment_fixed_size: 0
    .sgpr_count:     24
    .sgpr_spill_count: 0
    .symbol:         _Z6reduceliiPfS_.kd
    .uniform_work_group_size: 1
    .uses_dynamic_stack: false
    .vgpr_count:     8
    .vgpr_spill_count: 0
    .wavefront_size: 64
  - .args:
      - .offset:         0
        .size:           4
        .value_kind:     by_value
      - .offset:         4
        .size:           4
        .value_kind:     by_value
      - .offset:         8
        .size:           4
        .value_kind:     by_value
      - .offset:         16
        .size:           8
        .value_kind:     by_value
      - .address_space:  global
        .offset:         24
        .size:           8
        .value_kind:     global_buffer
      - .address_space:  global
        .offset:         32
        .size:           8
        .value_kind:     global_buffer
      - .address_space:  global
        .offset:         40
        .size:           8
        .value_kind:     global_buffer
      - .address_space:  global
        .offset:         48
        .size:           8
        .value_kind:     global_buffer
      - .address_space:  global
        .offset:         56
        .size:           8
        .value_kind:     global_buffer
      - .address_space:  global
        .offset:         64
        .size:           8
        .value_kind:     global_buffer
      - .address_space:  global
        .offset:         72
        .size:           8
        .value_kind:     global_buffer
      - .address_space:  global
        .offset:         80
        .size:           8
        .value_kind:     global_buffer
      - .offset:         88
        .size:           4
        .value_kind:     by_value
      - .address_space:  global
        .offset:         96
        .size:           8
        .value_kind:     global_buffer
      - .address_space:  global
        .offset:         104
        .size:           8
        .value_kind:     global_buffer
    .group_segment_fixed_size: 0
    .kernarg_segment_align: 8
    .kernarg_segment_size: 112
    .language:       OpenCL C
    .language_version:
      - 2
      - 0
    .max_flat_workgroup_size: 1024
    .name:           _Z4sradfiilPKiS0_S0_S0_PfS1_S1_S1_fS1_PKf
    .private_segment_fixed_size: 0
    .sgpr_count:     32
    .sgpr_spill_count: 0
    .symbol:         _Z4sradfiilPKiS0_S0_S0_PfS1_S1_S1_fS1_PKf.kd
    .uniform_work_group_size: 1
    .uses_dynamic_stack: false
    .vgpr_count:     20
    .vgpr_spill_count: 0
    .wavefront_size: 64
  - .args:
      - .offset:         0
        .size:           4
        .value_kind:     by_value
      - .offset:         4
        .size:           4
        .value_kind:     by_value
      - .offset:         8
        .size:           4
        .value_kind:     by_value
      - .offset:         16
        .size:           8
        .value_kind:     by_value
      - .address_space:  global
        .offset:         24
        .size:           8
        .value_kind:     global_buffer
      - .address_space:  global
        .offset:         32
        .size:           8
        .value_kind:     global_buffer
      - .address_space:  global
        .offset:         40
        .size:           8
        .value_kind:     global_buffer
      - .address_space:  global
        .offset:         48
        .size:           8
        .value_kind:     global_buffer
      - .address_space:  global
        .offset:         56
        .size:           8
        .value_kind:     global_buffer
      - .address_space:  global
        .offset:         64
        .size:           8
        .value_kind:     global_buffer
      - .address_space:  global
        .offset:         72
        .size:           8
        .value_kind:     global_buffer
      - .address_space:  global
        .offset:         80
        .size:           8
        .value_kind:     global_buffer
      - .address_space:  global
        .offset:         88
        .size:           8
        .value_kind:     global_buffer
      - .address_space:  global
        .offset:         96
        .size:           8
        .value_kind:     global_buffer
    .group_segment_fixed_size: 0
    .kernarg_segment_align: 8
    .kernarg_segment_size: 104
    .language:       OpenCL C
    .language_version:
      - 2
      - 0
    .max_flat_workgroup_size: 1024
    .name:           _Z5srad2fiilPKiS0_S0_S0_PKfS2_S2_S2_S2_Pf
    .private_segment_fixed_size: 0
    .sgpr_count:     20
    .sgpr_spill_count: 0
    .symbol:         _Z5srad2fiilPKiS0_S0_S0_PKfS2_S2_S2_S2_Pf.kd
    .uniform_work_group_size: 1
    .uses_dynamic_stack: false
    .vgpr_count:     18
    .vgpr_spill_count: 0
    .wavefront_size: 64
  - .args:
      - .offset:         0
        .size:           8
        .value_kind:     by_value
      - .address_space:  global
        .offset:         8
        .size:           8
        .value_kind:     global_buffer
    .group_segment_fixed_size: 0
    .kernarg_segment_align: 8
    .kernarg_segment_size: 16
    .language:       OpenCL C
    .language_version:
      - 2
      - 0
    .max_flat_workgroup_size: 1024
    .name:           _Z8compresslPf
    .private_segment_fixed_size: 0
    .sgpr_count:     11
    .sgpr_spill_count: 0
    .symbol:         _Z8compresslPf.kd
    .uniform_work_group_size: 1
    .uses_dynamic_stack: false
    .vgpr_count:     5
    .vgpr_spill_count: 0
    .wavefront_size: 64
amdhsa.target:   amdgcn-amd-amdhsa--gfx906
amdhsa.version:
  - 1
  - 2
...

	.end_amdgpu_metadata
